;; amdgpu-corpus repo=ROCm/rocFFT kind=compiled arch=gfx906 opt=O3
	.text
	.amdgcn_target "amdgcn-amd-amdhsa--gfx906"
	.amdhsa_code_object_version 6
	.protected	fft_rtc_fwd_len1386_factors_2_7_3_11_3_wgs_231_tpt_231_halfLds_half_ip_CI_unitstride_sbrr_dirReg ; -- Begin function fft_rtc_fwd_len1386_factors_2_7_3_11_3_wgs_231_tpt_231_halfLds_half_ip_CI_unitstride_sbrr_dirReg
	.globl	fft_rtc_fwd_len1386_factors_2_7_3_11_3_wgs_231_tpt_231_halfLds_half_ip_CI_unitstride_sbrr_dirReg
	.p2align	8
	.type	fft_rtc_fwd_len1386_factors_2_7_3_11_3_wgs_231_tpt_231_halfLds_half_ip_CI_unitstride_sbrr_dirReg,@function
fft_rtc_fwd_len1386_factors_2_7_3_11_3_wgs_231_tpt_231_halfLds_half_ip_CI_unitstride_sbrr_dirReg: ; @fft_rtc_fwd_len1386_factors_2_7_3_11_3_wgs_231_tpt_231_halfLds_half_ip_CI_unitstride_sbrr_dirReg
; %bb.0:
	s_load_dwordx2 s[2:3], s[4:5], 0x50
	s_load_dwordx4 s[8:11], s[4:5], 0x0
	s_load_dwordx2 s[12:13], s[4:5], 0x18
	v_mul_u32_u24_e32 v1, 0x11c, v0
	v_add_u32_sdwa v5, s6, v1 dst_sel:DWORD dst_unused:UNUSED_PAD src0_sel:DWORD src1_sel:WORD_1
	v_mov_b32_e32 v3, 0
	s_waitcnt lgkmcnt(0)
	v_cmp_lt_u64_e64 s[0:1], s[10:11], 2
	v_mov_b32_e32 v1, 0
	v_mov_b32_e32 v6, v3
	s_and_b64 vcc, exec, s[0:1]
	v_mov_b32_e32 v2, 0
	s_cbranch_vccnz .LBB0_8
; %bb.1:
	s_load_dwordx2 s[0:1], s[4:5], 0x10
	s_add_u32 s6, s12, 8
	s_addc_u32 s7, s13, 0
	v_mov_b32_e32 v1, 0
	v_mov_b32_e32 v2, 0
	s_waitcnt lgkmcnt(0)
	s_add_u32 s14, s0, 8
	s_addc_u32 s15, s1, 0
	s_mov_b64 s[16:17], 1
.LBB0_2:                                ; =>This Inner Loop Header: Depth=1
	s_load_dwordx2 s[18:19], s[14:15], 0x0
                                        ; implicit-def: $vgpr7_vgpr8
	s_waitcnt lgkmcnt(0)
	v_or_b32_e32 v4, s19, v6
	v_cmp_ne_u64_e32 vcc, 0, v[3:4]
	s_and_saveexec_b64 s[0:1], vcc
	s_xor_b64 s[20:21], exec, s[0:1]
	s_cbranch_execz .LBB0_4
; %bb.3:                                ;   in Loop: Header=BB0_2 Depth=1
	v_cvt_f32_u32_e32 v4, s18
	v_cvt_f32_u32_e32 v7, s19
	s_sub_u32 s0, 0, s18
	s_subb_u32 s1, 0, s19
	v_mac_f32_e32 v4, 0x4f800000, v7
	v_rcp_f32_e32 v4, v4
	v_mul_f32_e32 v4, 0x5f7ffffc, v4
	v_mul_f32_e32 v7, 0x2f800000, v4
	v_trunc_f32_e32 v7, v7
	v_mac_f32_e32 v4, 0xcf800000, v7
	v_cvt_u32_f32_e32 v7, v7
	v_cvt_u32_f32_e32 v4, v4
	v_mul_lo_u32 v8, s0, v7
	v_mul_hi_u32 v9, s0, v4
	v_mul_lo_u32 v11, s1, v4
	v_mul_lo_u32 v10, s0, v4
	v_add_u32_e32 v8, v9, v8
	v_add_u32_e32 v8, v8, v11
	v_mul_hi_u32 v9, v4, v10
	v_mul_lo_u32 v11, v4, v8
	v_mul_hi_u32 v13, v4, v8
	v_mul_hi_u32 v12, v7, v10
	v_mul_lo_u32 v10, v7, v10
	v_mul_hi_u32 v14, v7, v8
	v_add_co_u32_e32 v9, vcc, v9, v11
	v_addc_co_u32_e32 v11, vcc, 0, v13, vcc
	v_mul_lo_u32 v8, v7, v8
	v_add_co_u32_e32 v9, vcc, v9, v10
	v_addc_co_u32_e32 v9, vcc, v11, v12, vcc
	v_addc_co_u32_e32 v10, vcc, 0, v14, vcc
	v_add_co_u32_e32 v8, vcc, v9, v8
	v_addc_co_u32_e32 v9, vcc, 0, v10, vcc
	v_add_co_u32_e32 v4, vcc, v4, v8
	v_addc_co_u32_e32 v7, vcc, v7, v9, vcc
	v_mul_lo_u32 v8, s0, v7
	v_mul_hi_u32 v9, s0, v4
	v_mul_lo_u32 v10, s1, v4
	v_mul_lo_u32 v11, s0, v4
	v_add_u32_e32 v8, v9, v8
	v_add_u32_e32 v8, v8, v10
	v_mul_lo_u32 v12, v4, v8
	v_mul_hi_u32 v13, v4, v11
	v_mul_hi_u32 v14, v4, v8
	;; [unrolled: 1-line block ×3, first 2 shown]
	v_mul_lo_u32 v11, v7, v11
	v_mul_hi_u32 v9, v7, v8
	v_add_co_u32_e32 v12, vcc, v13, v12
	v_addc_co_u32_e32 v13, vcc, 0, v14, vcc
	v_mul_lo_u32 v8, v7, v8
	v_add_co_u32_e32 v11, vcc, v12, v11
	v_addc_co_u32_e32 v10, vcc, v13, v10, vcc
	v_addc_co_u32_e32 v9, vcc, 0, v9, vcc
	v_add_co_u32_e32 v8, vcc, v10, v8
	v_addc_co_u32_e32 v9, vcc, 0, v9, vcc
	v_add_co_u32_e32 v4, vcc, v4, v8
	v_addc_co_u32_e32 v9, vcc, v7, v9, vcc
	v_mad_u64_u32 v[7:8], s[0:1], v5, v9, 0
	v_mul_hi_u32 v10, v5, v4
	v_add_co_u32_e32 v11, vcc, v10, v7
	v_addc_co_u32_e32 v12, vcc, 0, v8, vcc
	v_mad_u64_u32 v[7:8], s[0:1], v6, v4, 0
	v_mad_u64_u32 v[9:10], s[0:1], v6, v9, 0
	v_add_co_u32_e32 v4, vcc, v11, v7
	v_addc_co_u32_e32 v4, vcc, v12, v8, vcc
	v_addc_co_u32_e32 v7, vcc, 0, v10, vcc
	v_add_co_u32_e32 v4, vcc, v4, v9
	v_addc_co_u32_e32 v9, vcc, 0, v7, vcc
	v_mul_lo_u32 v10, s19, v4
	v_mul_lo_u32 v11, s18, v9
	v_mad_u64_u32 v[7:8], s[0:1], s18, v4, 0
	v_add3_u32 v8, v8, v11, v10
	v_sub_u32_e32 v10, v6, v8
	v_mov_b32_e32 v11, s19
	v_sub_co_u32_e32 v7, vcc, v5, v7
	v_subb_co_u32_e64 v10, s[0:1], v10, v11, vcc
	v_subrev_co_u32_e64 v11, s[0:1], s18, v7
	v_subbrev_co_u32_e64 v10, s[0:1], 0, v10, s[0:1]
	v_cmp_le_u32_e64 s[0:1], s19, v10
	v_cndmask_b32_e64 v12, 0, -1, s[0:1]
	v_cmp_le_u32_e64 s[0:1], s18, v11
	v_cndmask_b32_e64 v11, 0, -1, s[0:1]
	v_cmp_eq_u32_e64 s[0:1], s19, v10
	v_cndmask_b32_e64 v10, v12, v11, s[0:1]
	v_add_co_u32_e64 v11, s[0:1], 2, v4
	v_addc_co_u32_e64 v12, s[0:1], 0, v9, s[0:1]
	v_add_co_u32_e64 v13, s[0:1], 1, v4
	v_addc_co_u32_e64 v14, s[0:1], 0, v9, s[0:1]
	v_subb_co_u32_e32 v8, vcc, v6, v8, vcc
	v_cmp_ne_u32_e64 s[0:1], 0, v10
	v_cmp_le_u32_e32 vcc, s19, v8
	v_cndmask_b32_e64 v10, v14, v12, s[0:1]
	v_cndmask_b32_e64 v12, 0, -1, vcc
	v_cmp_le_u32_e32 vcc, s18, v7
	v_cndmask_b32_e64 v7, 0, -1, vcc
	v_cmp_eq_u32_e32 vcc, s19, v8
	v_cndmask_b32_e32 v7, v12, v7, vcc
	v_cmp_ne_u32_e32 vcc, 0, v7
	v_cndmask_b32_e64 v7, v13, v11, s[0:1]
	v_cndmask_b32_e32 v8, v9, v10, vcc
	v_cndmask_b32_e32 v7, v4, v7, vcc
.LBB0_4:                                ;   in Loop: Header=BB0_2 Depth=1
	s_andn2_saveexec_b64 s[0:1], s[20:21]
	s_cbranch_execz .LBB0_6
; %bb.5:                                ;   in Loop: Header=BB0_2 Depth=1
	v_cvt_f32_u32_e32 v4, s18
	s_sub_i32 s20, 0, s18
	v_rcp_iflag_f32_e32 v4, v4
	v_mul_f32_e32 v4, 0x4f7ffffe, v4
	v_cvt_u32_f32_e32 v4, v4
	v_mul_lo_u32 v7, s20, v4
	v_mul_hi_u32 v7, v4, v7
	v_add_u32_e32 v4, v4, v7
	v_mul_hi_u32 v4, v5, v4
	v_mul_lo_u32 v7, v4, s18
	v_add_u32_e32 v8, 1, v4
	v_sub_u32_e32 v7, v5, v7
	v_subrev_u32_e32 v9, s18, v7
	v_cmp_le_u32_e32 vcc, s18, v7
	v_cndmask_b32_e32 v7, v7, v9, vcc
	v_cndmask_b32_e32 v4, v4, v8, vcc
	v_add_u32_e32 v8, 1, v4
	v_cmp_le_u32_e32 vcc, s18, v7
	v_cndmask_b32_e32 v7, v4, v8, vcc
	v_mov_b32_e32 v8, v3
.LBB0_6:                                ;   in Loop: Header=BB0_2 Depth=1
	s_or_b64 exec, exec, s[0:1]
	v_mul_lo_u32 v4, v8, s18
	v_mul_lo_u32 v11, v7, s19
	v_mad_u64_u32 v[9:10], s[0:1], v7, s18, 0
	s_load_dwordx2 s[0:1], s[6:7], 0x0
	s_add_u32 s16, s16, 1
	v_add3_u32 v4, v10, v11, v4
	v_sub_co_u32_e32 v5, vcc, v5, v9
	v_subb_co_u32_e32 v4, vcc, v6, v4, vcc
	s_waitcnt lgkmcnt(0)
	v_mul_lo_u32 v4, s0, v4
	v_mul_lo_u32 v6, s1, v5
	v_mad_u64_u32 v[1:2], s[0:1], s0, v5, v[1:2]
	s_addc_u32 s17, s17, 0
	s_add_u32 s6, s6, 8
	v_add3_u32 v2, v6, v2, v4
	v_mov_b32_e32 v4, s10
	v_mov_b32_e32 v5, s11
	s_addc_u32 s7, s7, 0
	v_cmp_ge_u64_e32 vcc, s[16:17], v[4:5]
	s_add_u32 s14, s14, 8
	s_addc_u32 s15, s15, 0
	s_cbranch_vccnz .LBB0_9
; %bb.7:                                ;   in Loop: Header=BB0_2 Depth=1
	v_mov_b32_e32 v5, v7
	v_mov_b32_e32 v6, v8
	s_branch .LBB0_2
.LBB0_8:
	v_mov_b32_e32 v8, v6
	v_mov_b32_e32 v7, v5
.LBB0_9:
	s_lshl_b64 s[0:1], s[10:11], 3
	s_add_u32 s0, s12, s0
	s_addc_u32 s1, s13, s1
	s_load_dwordx2 s[6:7], s[0:1], 0x0
	s_load_dwordx2 s[10:11], s[4:5], 0x20
	v_mov_b32_e32 v6, 0
	v_mov_b32_e32 v16, 0
                                        ; implicit-def: $vgpr14
                                        ; implicit-def: $vgpr15
                                        ; implicit-def: $vgpr18
                                        ; implicit-def: $vgpr10
	s_waitcnt lgkmcnt(0)
	v_mad_u64_u32 v[1:2], s[0:1], s6, v7, v[1:2]
	s_mov_b32 s0, 0x11bb4a5
	v_mul_lo_u32 v3, s6, v8
	v_mul_lo_u32 v4, s7, v7
	v_mul_hi_u32 v5, v0, s0
	v_cmp_gt_u64_e64 s[0:1], s[10:11], v[7:8]
	v_mov_b32_e32 v7, 0
	v_add3_u32 v2, v4, v2, v3
	v_mul_u32_u24_e32 v3, 0xe7, v5
	v_sub_u32_e32 v0, v0, v3
	v_lshlrev_b64 v[2:3], 2, v[1:2]
                                        ; implicit-def: $vgpr1
                                        ; implicit-def: $vgpr4
	s_and_saveexec_b64 s[4:5], s[0:1]
	s_cbranch_execz .LBB0_11
; %bb.10:
	v_mov_b32_e32 v1, 0
	v_mov_b32_e32 v4, s3
	v_add_co_u32_e32 v6, vcc, s2, v2
	v_addc_co_u32_e32 v7, vcc, v4, v3, vcc
	v_lshlrev_b64 v[4:5], 2, v[0:1]
	v_add_co_u32_e32 v8, vcc, v6, v4
	v_addc_co_u32_e32 v9, vcc, v7, v5, vcc
	v_add_co_u32_e32 v11, vcc, 0x1000, v8
	global_load_dword v6, v[8:9], off
	global_load_dword v7, v[8:9], off offset:924
	v_addc_co_u32_e32 v12, vcc, 0, v9, vcc
	global_load_dword v1, v[8:9], off offset:2772
	global_load_dword v4, v[8:9], off offset:3696
	;; [unrolled: 1-line block ×4, first 2 shown]
	s_waitcnt vmcnt(3)
	v_lshrrev_b32_e32 v14, 16, v1
	s_waitcnt vmcnt(2)
	v_lshrrev_b32_e32 v15, 16, v4
	;; [unrolled: 2-line block ×3, first 2 shown]
.LBB0_11:
	s_or_b64 exec, exec, s[4:5]
	v_sub_f16_e32 v8, v6, v1
	v_fma_f16 v5, v6, 2.0, -v8
	v_sub_f16_e32 v9, v7, v4
	v_lshl_add_u32 v19, v0, 2, 0
	v_pack_b32_f16 v1, v5, v8
	v_fma_f16 v11, v7, 2.0, -v9
	s_waitcnt vmcnt(0)
	v_sub_f16_e32 v10, v16, v10
	ds_write_b32 v19, v1
	v_add_u32_e32 v1, 0xe7, v0
	v_fma_f16 v12, v16, 2.0, -v10
	v_lshlrev_b32_e32 v4, 1, v0
	v_lshl_add_u32 v21, v1, 2, 0
	v_pack_b32_f16 v13, v11, v9
	s_movk_i32 s4, 0xc6
	ds_write_b32 v21, v13
	v_add_u32_e32 v22, 0x738, v19
	v_pack_b32_f16 v13, v12, v10
	v_cmp_gt_u32_e32 vcc, s4, v0
	v_sub_u32_e32 v20, v19, v4
	ds_write_b32 v19, v13 offset:1848
	s_waitcnt lgkmcnt(0)
	s_barrier
	s_waitcnt lgkmcnt(0)
                                        ; implicit-def: $vgpr13
	s_and_saveexec_b64 s[4:5], vcc
	s_cbranch_execz .LBB0_13
; %bb.12:
	ds_read_u16 v5, v20
	ds_read_u16 v8, v20 offset:396
	ds_read_u16 v11, v20 offset:792
	;; [unrolled: 1-line block ×6, first 2 shown]
.LBB0_13:
	s_or_b64 exec, exec, s[4:5]
	v_lshrrev_b32_e32 v7, 16, v7
	v_lshrrev_b32_e32 v6, 16, v6
	v_sub_f16_e32 v15, v7, v15
	v_sub_f16_e32 v14, v6, v14
	v_fma_f16 v17, v7, 2.0, -v15
	v_lshrrev_b32_e32 v7, 16, v16
	v_fma_f16 v6, v6, 2.0, -v14
	v_sub_f16_e32 v16, v7, v18
	v_fma_f16 v18, v7, 2.0, -v16
	v_pack_b32_f16 v7, v6, v14
	s_waitcnt lgkmcnt(0)
	s_barrier
	ds_write_b32 v19, v7
	v_pack_b32_f16 v7, v17, v15
	ds_write_b32 v21, v7
	v_pack_b32_f16 v7, v18, v16
	ds_write_b32 v22, v7
	s_waitcnt lgkmcnt(0)
	s_barrier
	s_waitcnt lgkmcnt(0)
                                        ; implicit-def: $vgpr19
	s_and_saveexec_b64 s[4:5], vcc
	s_cbranch_execz .LBB0_15
; %bb.14:
	ds_read_u16 v6, v20
	ds_read_u16 v14, v20 offset:396
	ds_read_u16 v17, v20 offset:792
	;; [unrolled: 1-line block ×6, first 2 shown]
.LBB0_15:
	s_or_b64 exec, exec, s[4:5]
	v_and_b32_e32 v7, 1, v0
	v_mul_u32_u24_e32 v20, 6, v7
	v_lshlrev_b32_e32 v26, 2, v20
	global_load_dwordx4 v[20:23], v26, s[8:9]
	global_load_dwordx2 v[24:25], v26, s[8:9] offset:16
	s_movk_i32 s7, 0x2b26
	s_mov_b32 s10, 0xb846
	s_mov_b32 s11, 0xbcab
	s_movk_i32 s6, 0x370e
	s_waitcnt vmcnt(0) lgkmcnt(0)
	s_barrier
	v_mul_f16_sdwa v26, v14, v20 dst_sel:DWORD dst_unused:UNUSED_PAD src0_sel:DWORD src1_sel:WORD_1
	v_mul_f16_sdwa v28, v17, v21 dst_sel:DWORD dst_unused:UNUSED_PAD src0_sel:DWORD src1_sel:WORD_1
	;; [unrolled: 1-line block ×12, first 2 shown]
	v_fma_f16 v8, v8, v20, -v26
	v_fma_f16 v11, v11, v21, -v28
	;; [unrolled: 1-line block ×4, first 2 shown]
	v_fma_f16 v14, v14, v20, v27
	v_fma_f16 v17, v17, v21, v29
	v_fma_f16 v9, v9, v22, -v30
	v_fma_f16 v20, v15, v22, v31
	v_fma_f16 v12, v12, v23, -v32
	v_fma_f16 v18, v18, v23, v33
	v_fma_f16 v16, v16, v24, v35
	;; [unrolled: 1-line block ×3, first 2 shown]
	v_add_f16_e32 v22, v8, v13
	v_add_f16_e32 v23, v11, v10
	;; [unrolled: 1-line block ×3, first 2 shown]
	v_sub_f16_e32 v24, v14, v19
	v_sub_f16_e32 v25, v17, v16
	;; [unrolled: 1-line block ×3, first 2 shown]
	v_add_f16_e32 v26, v23, v22
	v_sub_f16_e32 v27, v22, v15
	v_sub_f16_e32 v30, v15, v23
	v_add_f16_e32 v28, v21, v25
	v_sub_f16_e32 v31, v21, v25
	v_sub_f16_e32 v21, v24, v21
	v_add_f16_e32 v15, v15, v26
	v_mul_f16_e32 v32, 0x3a52, v27
	v_mul_f16_e32 v29, 0x3574, v21
	v_add_f16_e32 v21, v5, v15
	v_add_f16_e32 v33, v28, v24
	v_fma_f16 v5, v31, s10, v29
	v_fma_f16 v27, v30, s7, v32
	;; [unrolled: 1-line block ×4, first 2 shown]
	v_add_f16_e32 v27, v27, v28
	v_sub_f16_e32 v5, v27, v26
	v_lshrrev_b32_e32 v15, 1, v0
	s_and_saveexec_b64 s[4:5], vcc
	s_cbranch_execz .LBB0_17
; %bb.16:
	v_sub_f16_e32 v22, v23, v22
	s_mov_b32 s12, 0xb9e0
	v_fma_f16 v23, v22, s12, -v32
	v_sub_f16_e32 v24, v25, v24
	s_mov_b32 s12, 0xbb00
	v_mul_f16_e32 v33, 0x370e, v33
	v_fma_f16 v25, v24, s12, -v29
	v_mul_f16_e32 v31, 0xb846, v31
	v_add_f16_e32 v23, v23, v28
	v_add_f16_e32 v25, v33, v25
	s_movk_i32 s12, 0x3b00
	v_mul_f16_e32 v30, 0x2b26, v30
	v_sub_f16_e32 v29, v23, v25
	v_fma_f16 v24, v24, s12, -v31
	s_movk_i32 s12, 0x39e0
	v_add_f16_e32 v23, v25, v23
	v_mul_u32_u24_e32 v25, 14, v15
	v_fma_f16 v22, v22, s12, -v30
	v_or_b32_e32 v25, v25, v7
	v_add_f16_e32 v24, v33, v24
	v_add_f16_e32 v22, v22, v28
	v_lshl_add_u32 v25, v25, 1, 0
	v_add_f16_e32 v28, v24, v22
	v_sub_f16_e32 v22, v22, v24
	v_add_f16_e32 v24, v26, v27
	ds_write_b16 v25, v21
	ds_write_b16 v25, v24 offset:4
	ds_write_b16 v25, v23 offset:8
	;; [unrolled: 1-line block ×6, first 2 shown]
.LBB0_17:
	s_or_b64 exec, exec, s[4:5]
	v_add_f16_e32 v19, v14, v19
	v_add_f16_e32 v17, v17, v16
	v_sub_f16_e32 v21, v8, v13
	v_sub_f16_e32 v22, v11, v10
	v_add_f16_e32 v8, v20, v18
	v_add_f16_e32 v10, v17, v19
	v_sub_f16_e32 v9, v12, v9
	v_sub_f16_e32 v11, v19, v8
	v_sub_f16_e32 v26, v8, v17
	v_add_f16_e32 v8, v8, v10
	v_add_f16_e32 v12, v9, v22
	v_sub_f16_e32 v27, v9, v22
	v_sub_f16_e32 v9, v21, v9
	v_add_f16_e32 v16, v6, v8
	v_mul_f16_e32 v25, 0x3a52, v11
	v_mul_f16_e32 v23, 0x3574, v9
	v_fma_f16 v18, v8, s11, v16
	v_fma_f16 v6, v26, s7, v25
	v_add_f16_e32 v28, v12, v21
	v_fma_f16 v8, v27, s10, v23
	v_add_f16_e32 v20, v6, v18
	v_lshl_add_u32 v6, v0, 1, 0
	v_fma_f16 v24, v28, s6, v8
	s_waitcnt lgkmcnt(0)
	s_barrier
	ds_read_u16 v8, v6
	ds_read_u16 v10, v6 offset:2310
	ds_read_u16 v13, v6 offset:1848
	;; [unrolled: 1-line block ×5, first 2 shown]
	v_add_f16_e32 v11, v24, v20
	s_waitcnt lgkmcnt(0)
	s_barrier
	s_and_saveexec_b64 s[4:5], vcc
	s_cbranch_execz .LBB0_19
; %bb.18:
	v_mul_f16_e32 v26, 0x2b26, v26
	v_sub_f16_e32 v17, v17, v19
	s_movk_i32 s6, 0x39e0
	v_sub_f16_e32 v19, v22, v21
	v_fma_f16 v21, v17, s6, -v26
	s_mov_b32 s6, 0xb9e0
	v_mul_f16_e32 v27, 0xb846, v27
	v_fma_f16 v17, v17, s6, -v25
	s_movk_i32 s6, 0x3b00
	v_fma_f16 v22, v19, s6, -v27
	s_mov_b32 s6, 0xbb00
	v_mul_u32_u24_e32 v15, 14, v15
	v_mul_f16_e32 v28, 0x370e, v28
	v_fma_f16 v19, v19, s6, -v23
	v_or_b32_e32 v7, v15, v7
	v_add_f16_e32 v21, v21, v18
	v_add_f16_e32 v17, v17, v18
	v_add_f16_e32 v18, v28, v22
	v_add_f16_e32 v19, v28, v19
	v_lshl_add_u32 v7, v7, 1, 0
	v_sub_f16_e32 v20, v20, v24
	v_sub_f16_e32 v22, v17, v19
	v_add_f16_e32 v23, v18, v21
	v_sub_f16_e32 v18, v21, v18
	v_add_f16_e32 v17, v19, v17
	ds_write_b16 v7, v16
	ds_write_b16 v7, v20 offset:4
	ds_write_b16 v7, v22 offset:8
	;; [unrolled: 1-line block ×6, first 2 shown]
.LBB0_19:
	s_or_b64 exec, exec, s[4:5]
	v_lshrrev_b16_e32 v7, 1, v0
	v_and_b32_e32 v15, 0x7f, v7
	v_lshrrev_b16_e32 v16, 1, v1
	v_mul_lo_u16_e32 v15, 0x93, v15
	v_mul_u32_u24_e32 v16, 0x4925, v16
	v_lshrrev_b16_e32 v19, 10, v15
	v_lshrrev_b32_e32 v22, 17, v16
	v_mul_lo_u16_e32 v15, 14, v19
	v_mul_lo_u16_e32 v17, 14, v22
	v_sub_u16_e32 v20, v0, v15
	v_mov_b32_e32 v15, 3
	v_sub_u16_e32 v23, v1, v17
	v_lshlrev_b32_sdwa v15, v15, v20 dst_sel:DWORD dst_unused:UNUSED_PAD src0_sel:DWORD src1_sel:BYTE_0
	v_lshlrev_b32_e32 v17, 3, v23
	s_waitcnt lgkmcnt(0)
	s_barrier
	global_load_dwordx2 v[15:16], v15, s[8:9] offset:48
	v_mov_b32_e32 v26, 1
	global_load_dwordx2 v[17:18], v17, s[8:9] offset:48
	ds_read_u16 v21, v6
	ds_read_u16 v30, v6 offset:2310
	ds_read_u16 v25, v6 offset:1848
	;; [unrolled: 1-line block ×5, first 2 shown]
	v_mul_u32_u24_e32 v22, 0x54, v22
	v_mul_u32_u24_e32 v19, 0x54, v19
	v_lshlrev_b32_e32 v23, 1, v23
	v_lshlrev_b32_sdwa v20, v26, v20 dst_sel:DWORD dst_unused:UNUSED_PAD src0_sel:DWORD src1_sel:BYTE_0
	v_add3_u32 v26, 0, v22, v23
	v_add3_u32 v27, 0, v19, v20
	s_movk_i32 s6, 0x3aee
	s_mov_b32 s7, 0xbaee
	s_movk_i32 s4, 0x7e
	v_cmp_gt_u32_e32 vcc, s4, v0
	s_waitcnt vmcnt(0) lgkmcnt(0)
	s_barrier
	v_mul_f16_sdwa v19, v29, v15 dst_sel:DWORD dst_unused:UNUSED_PAD src0_sel:DWORD src1_sel:WORD_1
	v_mul_f16_sdwa v20, v14, v15 dst_sel:DWORD dst_unused:UNUSED_PAD src0_sel:DWORD src1_sel:WORD_1
	;; [unrolled: 1-line block ×8, first 2 shown]
	v_fma_f16 v22, v14, v15, -v19
	v_fma_f16 v31, v29, v15, v20
	v_fma_f16 v23, v13, v16, -v23
	v_fma_f16 v32, v25, v16, v32
	;; [unrolled: 2-line block ×4, first 2 shown]
	v_add_f16_e32 v12, v22, v23
	v_add_f16_e32 v15, v25, v28
	;; [unrolled: 1-line block ×3, first 2 shown]
	v_sub_f16_e32 v13, v31, v32
	v_add_f16_e32 v14, v9, v25
	v_sub_f16_e32 v16, v29, v30
	v_fma_f16 v8, v12, -0.5, v8
	v_fma_f16 v9, v15, -0.5, v9
	v_add_f16_e32 v10, v10, v23
	v_add_f16_e32 v12, v14, v28
	v_fma_f16 v14, v13, s6, v8
	v_fma_f16 v15, v13, s7, v8
	;; [unrolled: 1-line block ×4, first 2 shown]
	ds_write_b16 v27, v10
	ds_write_b16 v27, v14 offset:28
	ds_write_b16 v27, v15 offset:56
	ds_write_b16 v26, v12
	ds_write_b16 v26, v13 offset:28
	ds_write_b16 v26, v16 offset:56
	s_waitcnt lgkmcnt(0)
	s_barrier
	s_waitcnt lgkmcnt(0)
                                        ; implicit-def: $vgpr18
                                        ; implicit-def: $vgpr19
                                        ; implicit-def: $vgpr20
                                        ; implicit-def: $vgpr17
	s_and_saveexec_b64 s[4:5], vcc
	s_cbranch_execz .LBB0_21
; %bb.20:
	ds_read_u16 v10, v6
	ds_read_u16 v14, v6 offset:252
	ds_read_u16 v15, v6 offset:504
	;; [unrolled: 1-line block ×10, first 2 shown]
.LBB0_21:
	s_or_b64 exec, exec, s[4:5]
	v_add_f16_e32 v8, v21, v31
	v_add_f16_e32 v9, v8, v32
	;; [unrolled: 1-line block ×3, first 2 shown]
	v_fma_f16 v8, v8, -0.5, v21
	v_sub_f16_e32 v21, v22, v23
	v_fma_f16 v22, v21, s7, v8
	v_fma_f16 v21, v21, s6, v8
	v_add_f16_e32 v8, v24, v29
	v_add_f16_e32 v23, v8, v30
	;; [unrolled: 1-line block ×3, first 2 shown]
	v_fma_f16 v8, v8, -0.5, v24
	v_sub_f16_e32 v24, v25, v28
	v_fma_f16 v25, v24, s7, v8
	v_fma_f16 v24, v24, s6, v8
	s_waitcnt lgkmcnt(0)
	s_barrier
	ds_write_b16 v27, v9
	ds_write_b16 v27, v22 offset:28
	ds_write_b16 v27, v21 offset:56
	ds_write_b16 v26, v23
	ds_write_b16 v26, v25 offset:28
	ds_write_b16 v26, v24 offset:56
	s_waitcnt lgkmcnt(0)
	s_barrier
	s_waitcnt lgkmcnt(0)
                                        ; implicit-def: $vgpr34
                                        ; implicit-def: $vgpr30
                                        ; implicit-def: $vgpr26
                                        ; implicit-def: $vgpr29
	s_and_saveexec_b64 s[4:5], vcc
	s_cbranch_execz .LBB0_23
; %bb.22:
	ds_read_u16 v9, v6
	ds_read_u16 v22, v6 offset:252
	ds_read_u16 v21, v6 offset:504
	;; [unrolled: 1-line block ×10, first 2 shown]
.LBB0_23:
	s_or_b64 exec, exec, s[4:5]
	v_and_b32_e32 v7, 0x7f, v7
	v_mul_lo_u16_e32 v7, 49, v7
	v_lshrrev_b16_e32 v7, 10, v7
	v_mul_lo_u16_e32 v8, 42, v7
	v_sub_u16_e32 v8, v0, v8
	v_mov_b32_e32 v27, 10
	v_mul_u32_u24_sdwa v27, v8, v27 dst_sel:DWORD dst_unused:UNUSED_PAD src0_sel:BYTE_0 src1_sel:DWORD
	v_lshlrev_b32_e32 v27, 2, v27
	global_load_dwordx4 v[35:38], v27, s[8:9] offset:160
	global_load_dwordx4 v[39:42], v27, s[8:9] offset:176
	global_load_dwordx2 v[43:44], v27, s[8:9] offset:192
	s_waitcnt vmcnt(0) lgkmcnt(0)
	s_barrier
	v_mul_f16_sdwa v27, v22, v35 dst_sel:DWORD dst_unused:UNUSED_PAD src0_sel:DWORD src1_sel:WORD_1
	v_mul_f16_sdwa v28, v14, v35 dst_sel:DWORD dst_unused:UNUSED_PAD src0_sel:DWORD src1_sel:WORD_1
	;; [unrolled: 1-line block ×20, first 2 shown]
	v_fma_f16 v31, v14, v35, -v27
	v_fma_f16 v32, v22, v35, v28
	v_fma_f16 v27, v15, v36, -v33
	v_fma_f16 v28, v21, v36, v45
	;; [unrolled: 2-line block ×10, first 2 shown]
	s_and_saveexec_b64 s[4:5], vcc
	s_cbranch_execz .LBB0_25
; %bb.24:
	v_sub_f16_e32 v19, v32, v34
	v_add_f16_e32 v18, v31, v33
	v_mul_f16_e32 v20, 0xb482, v19
	s_mov_b32 s6, 0xbbad
	v_sub_f16_e32 v35, v28, v30
	v_fma_f16 v23, v18, s6, v20
	v_add_f16_e32 v24, v27, v29
	v_mul_f16_e32 v36, 0x3853, v35
	s_movk_i32 s7, 0x3abb
	v_add_f16_e32 v23, v10, v23
	v_fma_f16 v37, v24, s7, v36
	v_sub_f16_e32 v38, v22, v26
	v_add_f16_e32 v23, v37, v23
	v_add_f16_e32 v37, v21, v25
	v_mul_f16_e32 v39, 0xba0c, v38
	s_mov_b32 s10, 0xb93d
	v_fma_f16 v40, v37, s10, v39
	v_sub_f16_e32 v41, v15, v17
	v_fma_f16 v20, v18, s6, -v20
	v_add_f16_e32 v23, v40, v23
	v_add_f16_e32 v40, v14, v16
	v_mul_f16_e32 v42, 0x3b47, v41
	s_movk_i32 s11, 0x36a6
	v_add_f16_e32 v20, v10, v20
	v_fma_f16 v36, v24, s7, -v36
	v_fma_f16 v43, v40, s11, v42
	v_sub_f16_e32 v44, v13, v11
	v_add_f16_e32 v20, v36, v20
	v_fma_f16 v36, v37, s10, -v39
	v_add_f16_e32 v23, v43, v23
	v_add_f16_e32 v43, v12, v5
	s_mov_b32 s12, 0xb08e
	v_mul_f16_e32 v45, 0xbbeb, v44
	v_add_f16_e32 v20, v36, v20
	v_fma_f16 v36, v40, s11, -v42
	v_add_f16_e32 v20, v36, v20
	v_fma_f16 v36, v43, s12, -v45
	v_add_f16_e32 v20, v36, v20
	v_mul_f16_e32 v36, 0xba0c, v19
	v_fma_f16 v39, v18, s10, v36
	v_mul_f16_e32 v42, 0x3beb, v35
	v_fma_f16 v46, v43, s12, v45
	v_add_f16_e32 v39, v10, v39
	v_fma_f16 v45, v24, s12, v42
	v_add_f16_e32 v39, v45, v39
	v_mul_f16_e32 v45, 0xb853, v38
	v_add_f16_e32 v23, v46, v23
	v_fma_f16 v46, v37, s7, v45
	v_fma_f16 v36, v18, s10, -v36
	v_add_f16_e32 v39, v46, v39
	v_mul_f16_e32 v46, 0xb482, v41
	v_add_f16_e32 v36, v10, v36
	v_fma_f16 v42, v24, s12, -v42
	v_fma_f16 v47, v40, s6, v46
	v_add_f16_e32 v36, v42, v36
	v_fma_f16 v42, v37, s7, -v45
	v_add_f16_e32 v39, v47, v39
	v_mul_f16_e32 v47, 0x3b47, v44
	v_add_f16_e32 v36, v42, v36
	v_fma_f16 v42, v40, s6, -v46
	v_add_f16_e32 v36, v42, v36
	v_fma_f16 v42, v43, s11, -v47
	v_add_f16_e32 v36, v42, v36
	v_mul_f16_e32 v42, 0xbbeb, v19
	v_fma_f16 v45, v18, s12, v42
	v_mul_f16_e32 v46, 0x3482, v35
	v_fma_f16 v48, v43, s11, v47
	v_add_f16_e32 v45, v10, v45
	v_fma_f16 v47, v24, s6, v46
	v_add_f16_e32 v45, v47, v45
	v_mul_f16_e32 v47, 0x3b47, v38
	v_add_f16_e32 v39, v48, v39
	v_fma_f16 v48, v37, s11, v47
	v_fma_f16 v42, v18, s12, -v42
	v_add_f16_e32 v45, v48, v45
	v_mul_f16_e32 v48, 0xb853, v41
	v_add_f16_e32 v42, v10, v42
	v_fma_f16 v46, v24, s6, -v46
	v_fma_f16 v49, v40, s7, v48
	v_add_f16_e32 v42, v46, v42
	v_fma_f16 v46, v37, s11, -v47
	v_add_f16_e32 v45, v49, v45
	;; [unrolled: 25-line block ×3, first 2 shown]
	v_mul_f16_e32 v51, 0x3853, v44
	v_add_f16_e32 v46, v48, v46
	v_fma_f16 v48, v40, s12, -v50
	v_add_f16_e32 v46, v48, v46
	v_fma_f16 v48, v43, s7, -v51
	v_mul_f16_e32 v19, 0xb853, v19
	v_add_f16_e32 v46, v48, v46
	v_fma_f16 v48, v18, s7, v19
	v_fma_f16 v18, v18, s7, -v19
	v_add_f16_e32 v48, v10, v48
	v_add_f16_e32 v18, v10, v18
	;; [unrolled: 1-line block ×5, first 2 shown]
	v_mul_f16_e32 v35, 0xbb47, v35
	v_add_f16_e32 v10, v10, v14
	v_mul_f16_e32 v38, 0xbbeb, v38
	v_fma_f16 v19, v24, s11, -v35
	v_add_f16_e32 v10, v10, v12
	v_mul_f16_e32 v41, 0xba0c, v41
	v_add_f16_e32 v18, v19, v18
	v_fma_f16 v19, v37, s12, -v38
	v_add_f16_e32 v10, v10, v5
	v_fma_f16 v49, v24, s11, v35
	v_mul_f16_e32 v44, 0xb482, v44
	v_add_f16_e32 v18, v19, v18
	v_add_f16_e32 v10, v10, v16
	v_fma_f16 v19, v40, s10, -v41
	v_add_f16_e32 v48, v49, v48
	v_fma_f16 v49, v37, s12, v38
	v_add_f16_e32 v10, v10, v25
	v_add_f16_e32 v18, v19, v18
	v_fma_f16 v19, v43, s6, -v44
	v_mov_b32_e32 v24, 1
	v_add_f16_e32 v48, v49, v48
	v_fma_f16 v49, v40, s10, v41
	v_add_f16_e32 v10, v10, v29
	v_add_f16_e32 v18, v19, v18
	v_mul_u32_u24_e32 v19, 0x39c, v7
	v_lshlrev_b32_sdwa v24, v24, v8 dst_sel:DWORD dst_unused:UNUSED_PAD src0_sel:DWORD src1_sel:BYTE_0
	v_fma_f16 v52, v43, s7, v51
	v_add_f16_e32 v48, v49, v48
	v_fma_f16 v49, v43, s6, v44
	v_add_f16_e32 v10, v10, v33
	v_add3_u32 v19, 0, v19, v24
	v_add_f16_e32 v47, v52, v47
	v_add_f16_e32 v48, v49, v48
	ds_write_b16 v19, v10
	ds_write_b16 v19, v18 offset:84
	ds_write_b16 v19, v46 offset:168
	ds_write_b16 v19, v42 offset:252
	ds_write_b16 v19, v36 offset:336
	ds_write_b16 v19, v20 offset:420
	ds_write_b16 v19, v23 offset:504
	ds_write_b16 v19, v39 offset:588
	ds_write_b16 v19, v45 offset:672
	ds_write_b16 v19, v47 offset:756
	ds_write_b16 v19, v48 offset:840
.LBB0_25:
	s_or_b64 exec, exec, s[4:5]
	s_waitcnt lgkmcnt(0)
	s_barrier
	ds_read_u16 v10, v6
	ds_read_u16 v23, v6 offset:2310
	ds_read_u16 v19, v6 offset:1848
	;; [unrolled: 1-line block ×5, first 2 shown]
	s_waitcnt lgkmcnt(0)
	s_barrier
	s_and_saveexec_b64 s[4:5], vcc
	s_cbranch_execz .LBB0_27
; %bb.26:
	v_add_f16_e32 v35, v9, v32
	v_add_f16_e32 v35, v35, v28
	;; [unrolled: 1-line block ×8, first 2 shown]
	v_sub_f16_e32 v31, v31, v33
	v_add_f16_e32 v35, v35, v30
	v_add_f16_e32 v32, v32, v34
	v_mul_f16_e32 v33, 0xb853, v31
	s_movk_i32 s6, 0x3abb
	v_mul_f16_e32 v36, 0xbb47, v31
	s_movk_i32 s7, 0x36a6
	v_mul_f16_e32 v38, 0xbbeb, v31
	s_mov_b32 s10, 0xb08e
	v_mul_f16_e32 v40, 0xba0c, v31
	s_mov_b32 s11, 0xb93d
	;; [unrolled: 2-line block ×3, first 2 shown]
	v_sub_f16_e32 v27, v27, v29
	v_add_f16_e32 v35, v35, v34
	v_fma_f16 v34, v32, s6, v33
	v_fma_f16 v33, v32, s6, -v33
	v_fma_f16 v37, v32, s7, v36
	v_fma_f16 v36, v32, s7, -v36
	;; [unrolled: 2-line block ×5, first 2 shown]
	v_add_f16_e32 v28, v28, v30
	v_mul_f16_e32 v29, 0xbb47, v27
	v_add_f16_e32 v34, v9, v34
	v_add_f16_e32 v33, v9, v33
	v_add_f16_e32 v37, v9, v37
	v_add_f16_e32 v36, v9, v36
	v_add_f16_e32 v39, v9, v39
	v_add_f16_e32 v38, v9, v38
	v_add_f16_e32 v41, v9, v41
	v_add_f16_e32 v40, v9, v40
	v_add_f16_e32 v42, v9, v42
	v_add_f16_e32 v9, v9, v31
	v_fma_f16 v30, v28, s7, v29
	v_fma_f16 v29, v28, s7, -v29
	v_mul_f16_e32 v31, 0xba0c, v27
	v_add_f16_e32 v29, v29, v33
	v_fma_f16 v32, v28, s11, v31
	v_fma_f16 v31, v28, s11, -v31
	v_mul_f16_e32 v33, 0x3482, v27
	v_add_f16_e32 v30, v30, v34
	v_add_f16_e32 v31, v31, v36
	v_fma_f16 v34, v28, s12, v33
	v_fma_f16 v33, v28, s12, -v33
	v_mul_f16_e32 v36, 0x3beb, v27
	v_mul_f16_e32 v27, 0x3853, v27
	v_sub_f16_e32 v21, v21, v25
	v_add_f16_e32 v33, v33, v38
	v_fma_f16 v38, v28, s6, v27
	v_fma_f16 v27, v28, s6, -v27
	v_add_f16_e32 v22, v22, v26
	v_mul_f16_e32 v25, 0xbbeb, v21
	v_add_f16_e32 v9, v27, v9
	v_fma_f16 v26, v22, s10, v25
	v_fma_f16 v25, v22, s10, -v25
	v_mul_f16_e32 v27, 0x3482, v21
	v_add_f16_e32 v32, v32, v37
	v_fma_f16 v37, v28, s10, v36
	v_fma_f16 v36, v28, s10, -v36
	v_add_f16_e32 v25, v25, v29
	v_fma_f16 v28, v22, s12, v27
	v_fma_f16 v27, v22, s12, -v27
	v_mul_f16_e32 v29, 0x3b47, v21
	v_add_f16_e32 v26, v26, v30
	v_add_f16_e32 v27, v27, v31
	v_fma_f16 v30, v22, s7, v29
	v_fma_f16 v29, v22, s7, -v29
	v_mul_f16_e32 v31, 0xb853, v21
	v_mul_f16_e32 v21, 0xba0c, v21
	v_sub_f16_e32 v14, v14, v16
	v_add_f16_e32 v29, v29, v33
	v_fma_f16 v33, v22, s11, v21
	v_fma_f16 v21, v22, s11, -v21
	v_add_f16_e32 v15, v15, v17
	v_mul_f16_e32 v16, 0xba0c, v14
	v_add_f16_e32 v9, v21, v9
	v_fma_f16 v17, v15, s11, v16
	v_fma_f16 v16, v15, s11, -v16
	v_mul_f16_e32 v21, 0x3beb, v14
	v_add_f16_e32 v28, v28, v32
	v_fma_f16 v32, v22, s6, v31
	v_fma_f16 v31, v22, s6, -v31
	;; [unrolled: 23-line block ×3, first 2 shown]
	v_add_f16_e32 v12, v12, v16
	v_fma_f16 v15, v11, s6, v14
	v_fma_f16 v14, v11, s6, -v14
	v_mul_f16_e32 v16, 0xba0c, v5
	v_add_f16_e32 v13, v13, v17
	v_add_f16_e32 v14, v14, v21
	v_fma_f16 v17, v11, s11, v16
	v_fma_f16 v16, v11, s11, -v16
	v_mul_f16_e32 v21, 0x3b47, v5
	v_mul_f16_e32 v5, 0xbbeb, v5
	v_add_f16_e32 v16, v16, v25
	v_fma_f16 v25, v11, s10, v5
	v_fma_f16 v5, v11, s10, -v5
	v_add_f16_e32 v34, v34, v39
	v_add_f16_e32 v37, v37, v41
	;; [unrolled: 1-line block ×5, first 2 shown]
	v_mov_b32_e32 v9, 1
	v_add_f16_e32 v30, v30, v34
	v_add_f16_e32 v32, v32, v37
	;; [unrolled: 1-line block ×4, first 2 shown]
	v_mul_u32_u24_e32 v7, 0x39c, v7
	v_lshlrev_b32_sdwa v8, v9, v8 dst_sel:DWORD dst_unused:UNUSED_PAD src0_sel:DWORD src1_sel:BYTE_0
	v_add_f16_e32 v26, v26, v30
	v_add_f16_e32 v28, v28, v32
	;; [unrolled: 1-line block ×5, first 2 shown]
	v_fma_f16 v22, v11, s7, v21
	v_fma_f16 v21, v11, s7, -v21
	v_add3_u32 v7, 0, v7, v8
	v_add_f16_e32 v17, v17, v26
	v_add_f16_e32 v22, v22, v28
	;; [unrolled: 1-line block ×4, first 2 shown]
	ds_write_b16 v7, v35
	ds_write_b16 v7, v13 offset:84
	ds_write_b16 v7, v15 offset:168
	;; [unrolled: 1-line block ×10, first 2 shown]
.LBB0_27:
	s_or_b64 exec, exec, s[4:5]
	s_waitcnt lgkmcnt(0)
	s_barrier
	s_and_saveexec_b64 s[4:5], s[0:1]
	s_cbranch_execz .LBB0_29
; %bb.28:
	v_lshlrev_b32_e32 v7, 1, v1
	v_mov_b32_e32 v8, 0
	v_lshlrev_b64 v[11:12], 2, v[7:8]
	v_mov_b32_e32 v5, v8
	v_mov_b32_e32 v7, s9
	v_add_co_u32_e32 v11, vcc, s8, v11
	v_lshlrev_b64 v[4:5], 2, v[4:5]
	v_addc_co_u32_e32 v12, vcc, v7, v12, vcc
	v_add_co_u32_e32 v4, vcc, s8, v4
	global_load_dwordx2 v[11:12], v[11:12], off offset:1840
	v_addc_co_u32_e32 v5, vcc, v7, v5, vcc
	global_load_dwordx2 v[4:5], v[4:5], off offset:1840
	v_mov_b32_e32 v7, s3
	v_lshrrev_b32_e32 v17, 1, v1
	s_mov_b32 s3, 0x8dda5203
	v_add_co_u32_e32 v2, vcc, s2, v2
	v_addc_co_u32_e32 v3, vcc, v7, v3, vcc
	v_mul_hi_u32 v7, v17, s3
	v_mov_b32_e32 v1, v8
	v_lshlrev_b64 v[0:1], 2, v[0:1]
	ds_read_u16 v9, v6 offset:2310
	ds_read_u16 v13, v6 offset:1848
	;; [unrolled: 1-line block ×5, first 2 shown]
	ds_read_u16 v6, v6
	v_add_co_u32_e32 v0, vcc, v2, v0
	v_lshrrev_b32_e32 v2, 7, v7
	v_mul_u32_u24_e32 v7, 0x39c, v2
	v_addc_co_u32_e32 v1, vcc, v3, v1, vcc
	v_lshlrev_b64 v[2:3], 2, v[7:8]
	s_movk_i32 s0, 0x3aee
	s_mov_b32 s1, 0xbaee
	s_waitcnt vmcnt(1) lgkmcnt(3)
	v_mul_f16_sdwa v7, v14, v11 dst_sel:DWORD dst_unused:UNUSED_PAD src0_sel:DWORD src1_sel:WORD_1
	v_mul_f16_sdwa v8, v9, v12 dst_sel:DWORD dst_unused:UNUSED_PAD src0_sel:DWORD src1_sel:WORD_1
	v_mul_f16_sdwa v17, v24, v11 dst_sel:DWORD dst_unused:UNUSED_PAD src0_sel:DWORD src1_sel:WORD_1
	v_mul_f16_sdwa v21, v23, v12 dst_sel:DWORD dst_unused:UNUSED_PAD src0_sel:DWORD src1_sel:WORD_1
	v_fma_f16 v7, v24, v11, -v7
	v_fma_f16 v8, v23, v12, -v8
	v_fma_f16 v11, v11, v14, v17
	v_fma_f16 v9, v12, v9, v21
	s_waitcnt vmcnt(0) lgkmcnt(2)
	v_mul_f16_sdwa v12, v15, v4 dst_sel:DWORD dst_unused:UNUSED_PAD src0_sel:DWORD src1_sel:WORD_1
	v_mul_f16_sdwa v14, v13, v5 dst_sel:DWORD dst_unused:UNUSED_PAD src0_sel:DWORD src1_sel:WORD_1
	;; [unrolled: 1-line block ×4, first 2 shown]
	v_sub_f16_e32 v22, v7, v8
	v_add_f16_e32 v23, v11, v9
	v_add_f16_e32 v24, v7, v8
	v_sub_f16_e32 v25, v11, v9
	s_waitcnt lgkmcnt(1)
	v_add_f16_e32 v11, v11, v16
	v_add_f16_e32 v7, v18, v7
	v_fma_f16 v12, v20, v4, -v12
	v_fma_f16 v14, v19, v5, -v14
	v_fma_f16 v4, v4, v15, v17
	v_fma_f16 v5, v5, v13, v21
	v_fma_f16 v13, v23, -0.5, v16
	v_add_f16_e32 v9, v9, v11
	v_add_f16_e32 v7, v7, v8
	v_sub_f16_e32 v8, v12, v14
	v_add_f16_e32 v11, v4, v5
	v_add_f16_e32 v16, v12, v14
	v_sub_f16_e32 v17, v4, v5
	s_waitcnt lgkmcnt(0)
	v_add_f16_e32 v4, v4, v6
	v_add_f16_e32 v12, v10, v12
	v_fma_f16 v6, v11, -0.5, v6
	v_fma_f16 v10, v16, -0.5, v10
	v_add_f16_e32 v4, v5, v4
	v_add_f16_e32 v5, v12, v14
	v_fma_f16 v11, v8, s0, v6
	v_fma_f16 v6, v8, s1, v6
	;; [unrolled: 1-line block ×3, first 2 shown]
	v_pack_b32_f16 v4, v5, v4
	v_fma_f16 v12, v17, s1, v10
	global_store_dword v[0:1], v4, off
	v_pack_b32_f16 v4, v8, v6
	v_fma_f16 v15, v24, -0.5, v18
	v_pack_b32_f16 v5, v12, v11
	global_store_dword v[0:1], v4, off offset:1848
	global_store_dword v[0:1], v5, off offset:3696
	v_add_co_u32_e32 v0, vcc, v0, v2
	v_fma_f16 v18, v22, s0, v13
	v_fma_f16 v19, v25, s1, v15
	;; [unrolled: 1-line block ×4, first 2 shown]
	v_addc_co_u32_e32 v1, vcc, v1, v3, vcc
	v_pack_b32_f16 v4, v7, v9
	v_add_co_u32_e32 v2, vcc, 0x39c, v0
	global_store_dword v[0:1], v4, off offset:924
	v_pack_b32_f16 v4, v15, v13
	v_addc_co_u32_e32 v3, vcc, 0, v1, vcc
	global_store_dword v[0:1], v4, off offset:2772
	v_pack_b32_f16 v0, v19, v18
	global_store_dword v[2:3], v0, off offset:3696
.LBB0_29:
	s_endpgm
	.section	.rodata,"a",@progbits
	.p2align	6, 0x0
	.amdhsa_kernel fft_rtc_fwd_len1386_factors_2_7_3_11_3_wgs_231_tpt_231_halfLds_half_ip_CI_unitstride_sbrr_dirReg
		.amdhsa_group_segment_fixed_size 0
		.amdhsa_private_segment_fixed_size 0
		.amdhsa_kernarg_size 88
		.amdhsa_user_sgpr_count 6
		.amdhsa_user_sgpr_private_segment_buffer 1
		.amdhsa_user_sgpr_dispatch_ptr 0
		.amdhsa_user_sgpr_queue_ptr 0
		.amdhsa_user_sgpr_kernarg_segment_ptr 1
		.amdhsa_user_sgpr_dispatch_id 0
		.amdhsa_user_sgpr_flat_scratch_init 0
		.amdhsa_user_sgpr_private_segment_size 0
		.amdhsa_uses_dynamic_stack 0
		.amdhsa_system_sgpr_private_segment_wavefront_offset 0
		.amdhsa_system_sgpr_workgroup_id_x 1
		.amdhsa_system_sgpr_workgroup_id_y 0
		.amdhsa_system_sgpr_workgroup_id_z 0
		.amdhsa_system_sgpr_workgroup_info 0
		.amdhsa_system_vgpr_workitem_id 0
		.amdhsa_next_free_vgpr 62
		.amdhsa_next_free_sgpr 22
		.amdhsa_reserve_vcc 1
		.amdhsa_reserve_flat_scratch 0
		.amdhsa_float_round_mode_32 0
		.amdhsa_float_round_mode_16_64 0
		.amdhsa_float_denorm_mode_32 3
		.amdhsa_float_denorm_mode_16_64 3
		.amdhsa_dx10_clamp 1
		.amdhsa_ieee_mode 1
		.amdhsa_fp16_overflow 0
		.amdhsa_exception_fp_ieee_invalid_op 0
		.amdhsa_exception_fp_denorm_src 0
		.amdhsa_exception_fp_ieee_div_zero 0
		.amdhsa_exception_fp_ieee_overflow 0
		.amdhsa_exception_fp_ieee_underflow 0
		.amdhsa_exception_fp_ieee_inexact 0
		.amdhsa_exception_int_div_zero 0
	.end_amdhsa_kernel
	.text
.Lfunc_end0:
	.size	fft_rtc_fwd_len1386_factors_2_7_3_11_3_wgs_231_tpt_231_halfLds_half_ip_CI_unitstride_sbrr_dirReg, .Lfunc_end0-fft_rtc_fwd_len1386_factors_2_7_3_11_3_wgs_231_tpt_231_halfLds_half_ip_CI_unitstride_sbrr_dirReg
                                        ; -- End function
	.section	.AMDGPU.csdata,"",@progbits
; Kernel info:
; codeLenInByte = 6644
; NumSgprs: 26
; NumVgprs: 62
; ScratchSize: 0
; MemoryBound: 0
; FloatMode: 240
; IeeeMode: 1
; LDSByteSize: 0 bytes/workgroup (compile time only)
; SGPRBlocks: 3
; VGPRBlocks: 15
; NumSGPRsForWavesPerEU: 26
; NumVGPRsForWavesPerEU: 62
; Occupancy: 4
; WaveLimiterHint : 1
; COMPUTE_PGM_RSRC2:SCRATCH_EN: 0
; COMPUTE_PGM_RSRC2:USER_SGPR: 6
; COMPUTE_PGM_RSRC2:TRAP_HANDLER: 0
; COMPUTE_PGM_RSRC2:TGID_X_EN: 1
; COMPUTE_PGM_RSRC2:TGID_Y_EN: 0
; COMPUTE_PGM_RSRC2:TGID_Z_EN: 0
; COMPUTE_PGM_RSRC2:TIDIG_COMP_CNT: 0
	.type	__hip_cuid_3c284ea999dce880,@object ; @__hip_cuid_3c284ea999dce880
	.section	.bss,"aw",@nobits
	.globl	__hip_cuid_3c284ea999dce880
__hip_cuid_3c284ea999dce880:
	.byte	0                               ; 0x0
	.size	__hip_cuid_3c284ea999dce880, 1

	.ident	"AMD clang version 19.0.0git (https://github.com/RadeonOpenCompute/llvm-project roc-6.4.0 25133 c7fe45cf4b819c5991fe208aaa96edf142730f1d)"
	.section	".note.GNU-stack","",@progbits
	.addrsig
	.addrsig_sym __hip_cuid_3c284ea999dce880
	.amdgpu_metadata
---
amdhsa.kernels:
  - .args:
      - .actual_access:  read_only
        .address_space:  global
        .offset:         0
        .size:           8
        .value_kind:     global_buffer
      - .offset:         8
        .size:           8
        .value_kind:     by_value
      - .actual_access:  read_only
        .address_space:  global
        .offset:         16
        .size:           8
        .value_kind:     global_buffer
      - .actual_access:  read_only
        .address_space:  global
        .offset:         24
        .size:           8
        .value_kind:     global_buffer
      - .offset:         32
        .size:           8
        .value_kind:     by_value
      - .actual_access:  read_only
        .address_space:  global
        .offset:         40
        .size:           8
        .value_kind:     global_buffer
      - .actual_access:  read_only
        .address_space:  global
        .offset:         48
        .size:           8
        .value_kind:     global_buffer
      - .offset:         56
        .size:           4
        .value_kind:     by_value
      - .actual_access:  read_only
        .address_space:  global
        .offset:         64
        .size:           8
        .value_kind:     global_buffer
      - .actual_access:  read_only
        .address_space:  global
        .offset:         72
        .size:           8
        .value_kind:     global_buffer
      - .address_space:  global
        .offset:         80
        .size:           8
        .value_kind:     global_buffer
    .group_segment_fixed_size: 0
    .kernarg_segment_align: 8
    .kernarg_segment_size: 88
    .language:       OpenCL C
    .language_version:
      - 2
      - 0
    .max_flat_workgroup_size: 231
    .name:           fft_rtc_fwd_len1386_factors_2_7_3_11_3_wgs_231_tpt_231_halfLds_half_ip_CI_unitstride_sbrr_dirReg
    .private_segment_fixed_size: 0
    .sgpr_count:     26
    .sgpr_spill_count: 0
    .symbol:         fft_rtc_fwd_len1386_factors_2_7_3_11_3_wgs_231_tpt_231_halfLds_half_ip_CI_unitstride_sbrr_dirReg.kd
    .uniform_work_group_size: 1
    .uses_dynamic_stack: false
    .vgpr_count:     62
    .vgpr_spill_count: 0
    .wavefront_size: 64
amdhsa.target:   amdgcn-amd-amdhsa--gfx906
amdhsa.version:
  - 1
  - 2
...

	.end_amdgpu_metadata
